;; amdgpu-corpus repo=zjin-lcf/HeCBench kind=compiled arch=gfx950 opt=O3
	.amdgcn_target "amdgcn-amd-amdhsa--gfx950"
	.amdhsa_code_object_version 6
	.text
	.protected	_Z3epiPKjS0_Pfiiiii     ; -- Begin function _Z3epiPKjS0_Pfiiiii
	.globl	_Z3epiPKjS0_Pfiiiii
	.p2align	8
	.type	_Z3epiPKjS0_Pfiiiii,@function
_Z3epiPKjS0_Pfiiiii:                    ; @_Z3epiPKjS0_Pfiiiii
; %bb.0:
	s_load_dword s4, s[0:1], 0x3c
	s_load_dwordx4 s[20:23], s[0:1], 0x18
	v_and_b32_e32 v1, 0x3ff, v0
	v_bfe_u32 v0, v0, 10, 10
	s_waitcnt lgkmcnt(0)
	s_and_b32 s5, s4, 0xffff
	s_lshr_b32 s4, s4, 16
	s_mul_i32 s3, s3, s4
	s_mul_i32 s2, s2, s5
	v_add_u32_e32 v10, s2, v1
	v_add_u32_e32 v9, s3, v0
	v_max_i32_e32 v0, v9, v10
	v_cmp_gt_i32_e32 vcc, v10, v9
	v_cmp_gt_i32_e64 s[2:3], s20, v0
	s_and_b64 s[2:3], s[2:3], vcc
	s_and_saveexec_b64 s[4:5], s[2:3]
	s_cbranch_execz .LBB0_12
; %bb.1:
	s_load_dword s26, s[0:1], 0x28
	s_load_dwordx4 s[4:7], s[0:1], 0x0
	s_load_dwordx2 s[24:25], s[0:1], 0x10
	s_lshl_b32 s1, s21, 1
	v_lshlrev_b32_e32 v12, 1, v9
	v_lshlrev_b32_e32 v14, 1, v10
	s_add_i32 s1, s1, -2
	v_ashrrev_i32_e32 v13, 31, v12
	v_ashrrev_i32_e32 v15, 31, v14
	s_lshl_b32 s0, s20, 1
	s_mul_i32 s2, s1, s20
	s_cmp_lt_i32 s2, 1
	v_lshlrev_b64 v[16:17], 2, v[12:13]
	v_lshlrev_b64 v[18:19], 2, v[14:15]
	s_cbranch_scc1 .LBB0_4
; %bb.2:
	s_ashr_i32 s1, s0, 31
	s_lshl_b64 s[8:9], s[0:1], 2
	s_mov_b32 s1, 0
	v_mov_b32_e32 v0, 0
	v_mov_b32_e32 v1, 0
	;; [unrolled: 1-line block ×9, first 2 shown]
	s_waitcnt lgkmcnt(0)
	s_mov_b64 s[10:11], s[4:5]
.LBB0_3:                                ; =>This Inner Loop Header: Depth=1
	v_lshl_add_u64 v[20:21], s[10:11], 0, v[16:17]
	v_lshl_add_u64 v[22:23], s[10:11], 0, v[18:19]
	global_load_dwordx2 v[24:25], v[20:21], off
	global_load_dwordx2 v[26:27], v[22:23], off
	s_add_i32 s1, s1, s0
	s_add_u32 s10, s10, s8
	s_addc_u32 s11, s11, s9
	s_cmp_lt_i32 s1, s2
	s_waitcnt vmcnt(1)
	v_or_b32_e32 v11, v25, v24
	s_waitcnt vmcnt(0)
	v_or_b32_e32 v20, v27, v26
	v_and_b32_e32 v21, v26, v24
	v_and_b32_e32 v22, v27, v24
	;; [unrolled: 1-line block ×3, first 2 shown]
	v_xor_b32_e32 v11, -1, v11
	v_xor_b32_e32 v20, -1, v20
	v_and_b32_e32 v28, v27, v25
	v_bcnt_u32_b32 v0, v21, v0
	v_bcnt_u32_b32 v1, v22, v1
	;; [unrolled: 1-line block ×3, first 2 shown]
	v_and_b32_e32 v21, v24, v20
	v_and_b32_e32 v22, v25, v20
	;; [unrolled: 1-line block ×5, first 2 shown]
	v_bcnt_u32_b32 v4, v28, v4
	v_bcnt_u32_b32 v2, v21, v2
	;; [unrolled: 1-line block ×6, first 2 shown]
	s_cbranch_scc1 .LBB0_3
	s_branch .LBB0_5
.LBB0_4:
	v_mov_b32_e32 v8, 0
	v_mov_b32_e32 v7, 0
	;; [unrolled: 1-line block ×9, first 2 shown]
.LBB0_5:
	s_ashr_i32 s3, s2, 31
	s_waitcnt lgkmcnt(0)
	v_lshl_add_u64 v[20:21], v[12:13], 2, s[4:5]
	s_lshl_b64 s[2:3], s[2:3], 2
	v_lshl_add_u64 v[22:23], v[14:15], 2, s[4:5]
	v_lshl_add_u64 v[20:21], v[20:21], 0, s[2:3]
	;; [unrolled: 1-line block ×3, first 2 shown]
	global_load_dwordx2 v[24:25], v[20:21], off
	global_load_dwordx2 v[26:27], v[22:23], off
	s_lshl_b32 s1, s22, 1
	s_add_i32 s1, s1, -2
	s_mul_i32 s2, s1, s20
	s_cmp_gt_i32 s2, 0
	s_waitcnt vmcnt(1)
	v_or_b32_e32 v11, v25, v24
	s_waitcnt vmcnt(0)
	v_or_b32_e32 v20, v27, v26
	v_and_b32_e32 v21, v26, v24
	v_and_b32_e32 v22, v27, v24
	;; [unrolled: 1-line block ×4, first 2 shown]
	v_bitop3_b32 v24, s23, v24, v20 bitop3:0x40
	v_bitop3_b32 v25, s23, v25, v20 bitop3:0x40
	;; [unrolled: 1-line block ×5, first 2 shown]
	v_bcnt_u32_b32 v0, v21, v0
	v_bcnt_u32_b32 v1, v22, v1
	v_bcnt_u32_b32 v3, v23, v3
	v_bcnt_u32_b32 v4, v28, v4
	v_bcnt_u32_b32 v2, v24, v2
	v_bcnt_u32_b32 v5, v25, v5
	v_bcnt_u32_b32 v6, v26, v6
	v_bcnt_u32_b32 v7, v27, v7
	v_bcnt_u32_b32 v8, v11, v8
	s_cbranch_scc1 .LBB0_7
; %bb.6:
	s_mov_b64 s[4:5], 0
	s_branch .LBB0_8
.LBB0_7:
	s_mov_b64 s[4:5], -1
.LBB0_8:
	v_mov_b32_e32 v21, 0
	s_andn2_b64 vcc, exec, s[4:5]
	v_mov_b32_e32 v11, 0
	v_mov_b32_e32 v24, 0
	;; [unrolled: 1-line block ×8, first 2 shown]
	s_cbranch_vccnz .LBB0_11
; %bb.9:
	s_ashr_i32 s1, s0, 31
	s_lshl_b64 s[4:5], s[0:1], 2
	s_mov_b32 s1, 0
	v_mov_b32_e32 v20, 0
	v_mov_b32_e32 v26, 0
	;; [unrolled: 1-line block ×9, first 2 shown]
	s_mov_b64 s[8:9], s[6:7]
.LBB0_10:                               ; =>This Inner Loop Header: Depth=1
	v_lshl_add_u64 v[22:23], s[8:9], 0, v[16:17]
	v_lshl_add_u64 v[28:29], s[8:9], 0, v[18:19]
	global_load_dwordx2 v[32:33], v[22:23], off
	global_load_dwordx2 v[34:35], v[28:29], off
	s_add_i32 s1, s1, s0
	s_add_u32 s8, s8, s4
	s_addc_u32 s9, s9, s5
	s_cmp_lt_i32 s1, s2
	s_waitcnt vmcnt(1)
	v_or_b32_e32 v22, v33, v32
	s_waitcnt vmcnt(0)
	v_or_b32_e32 v23, v35, v34
	v_and_b32_e32 v28, v34, v32
	v_and_b32_e32 v29, v35, v32
	v_xor_b32_e32 v22, -1, v22
	v_xor_b32_e32 v23, -1, v23
	v_and_b32_e32 v36, v34, v33
	v_and_b32_e32 v37, v35, v33
	v_bcnt_u32_b32 v20, v28, v20
	v_bcnt_u32_b32 v26, v29, v26
	v_and_b32_e32 v28, v32, v23
	v_and_b32_e32 v29, v33, v23
	;; [unrolled: 1-line block ×5, first 2 shown]
	v_bcnt_u32_b32 v31, v36, v31
	v_bcnt_u32_b32 v30, v37, v30
	;; [unrolled: 1-line block ×7, first 2 shown]
	s_cbranch_scc1 .LBB0_10
.LBB0_11:
	v_cvt_f32_u32_e32 v17, v0
	s_mov_b32 s21, 0x800000
	s_mov_b32 s23, 0x3f317217
	;; [unrolled: 1-line block ×3, first 2 shown]
	v_cmp_gt_f32_e32 vcc, s21, v17
	s_ashr_i32 s3, s2, 31
	v_lshl_add_u64 v[12:13], v[12:13], 2, s[6:7]
	v_cndmask_b32_e64 v16, 0, 32, vcc
	v_ldexp_f32 v16, v17, v16
	v_log_f32_e32 v16, v16
	v_lshl_add_u64 v[14:15], v[14:15], 2, s[6:7]
	v_mul_f32_e32 v18, 0x3f317217, v16
	v_fma_f32 v18, v16, s23, -v18
	v_fmac_f32_e32 v18, 0x3377d1cf, v16
	v_fmac_f32_e32 v18, 0x3f317217, v16
	v_cmp_lt_f32_e64 s[0:1], |v16|, s22
	s_nop 1
	v_cndmask_b32_e64 v28, v16, v18, s[0:1]
	s_lshl_b64 s[0:1], s[2:3], 2
	v_lshl_add_u64 v[12:13], v[12:13], 0, s[0:1]
	v_lshl_add_u64 v[22:23], v[14:15], 0, s[0:1]
	global_load_dwordx2 v[18:19], v[12:13], off
	global_load_dwordx2 v[14:15], v[22:23], off
	s_waitcnt vmcnt(1)
	v_or_b32_e32 v46, v19, v18
	s_waitcnt vmcnt(0)
	v_and_b32_e32 v12, v14, v18
	v_bcnt_u32_b32 v22, v12, v20
	v_add3_u32 v23, v0, v22, 1
	v_cvt_f32_u32_e32 v16, v23
	v_mov_b32_e32 v20, 0x41b17218
	v_cmp_gt_f32_e64 s[0:1], s21, v16
	s_nop 1
	v_cndmask_b32_e64 v12, 0, 32, s[0:1]
	v_ldexp_f32 v12, v16, v12
	v_log_f32_e32 v12, v12
	s_nop 0
	v_mul_f32_e32 v13, 0x3f317217, v12
	v_fma_f32 v13, v12, s23, -v13
	v_fmac_f32_e32 v13, 0x3377d1cf, v12
	v_fmac_f32_e32 v13, 0x3f317217, v12
	v_cmp_lt_f32_e64 s[2:3], |v12|, s22
	s_nop 1
	v_cndmask_b32_e64 v12, v12, v13, s[2:3]
	v_cndmask_b32_e32 v13, 0, v20, vcc
	v_sub_f32_e32 v13, v28, v13
	v_cndmask_b32_e64 v28, 0, v20, s[0:1]
	v_sub_f32_e32 v12, v12, v28
	v_pk_add_f32 v[28:29], v[16:17], 0.5 op_sel_hi:[1,0]
	v_pk_add_f32 v[16:17], v[16:17], -1.0 op_sel_hi:[1,0]
	v_cmp_ne_u32_e32 vcc, 0, v0
	v_pk_fma_f32 v[12:13], v[28:29], v[12:13], v[16:17] neg_lo:[0,0,1] neg_hi:[0,0,1]
	v_cvt_f32_u32_e32 v16, v1
	v_cndmask_b32_e32 v13, 0, v13, vcc
	v_cmp_ne_u32_e32 vcc, 0, v22
	v_cmp_gt_f32_e64 s[0:1], s21, v16
	s_nop 1
	v_cndmask_b32_e64 v0, 0, 32, s[0:1]
	v_ldexp_f32 v0, v16, v0
	v_log_f32_e32 v0, v0
	s_nop 0
	v_mul_f32_e32 v17, 0x3f317217, v0
	v_fma_f32 v17, v0, s23, -v17
	v_fmac_f32_e32 v17, 0x3377d1cf, v0
	v_fmac_f32_e32 v17, 0x3f317217, v0
	v_cmp_lt_f32_e64 s[2:3], |v0|, s22
	s_nop 1
	v_cndmask_b32_e64 v0, v0, v17, s[2:3]
	v_cvt_f32_u32_e32 v17, v2
	v_cmp_gt_f32_e64 s[2:3], s21, v17
	s_nop 1
	v_cndmask_b32_e64 v28, 0, 32, s[2:3]
	v_ldexp_f32 v28, v17, v28
	v_log_f32_e32 v28, v28
	v_pk_add_f32 v[32:33], v[16:17], 0.5 op_sel_hi:[1,0]
	v_pk_add_f32 v[16:17], v[16:17], -1.0 op_sel_hi:[1,0]
	v_mul_f32_e32 v29, 0x3f317217, v28
	v_fma_f32 v29, v28, s23, -v29
	v_fmac_f32_e32 v29, 0x3377d1cf, v28
	v_fmac_f32_e32 v29, 0x3f317217, v28
	v_cmp_lt_f32_e64 s[4:5], |v28|, s22
	s_nop 1
	v_cndmask_b32_e64 v29, v28, v29, s[4:5]
	v_cndmask_b32_e64 v28, 0, v20, s[0:1]
	v_sub_f32_e32 v28, v0, v28
	v_cndmask_b32_e64 v0, 0, v20, s[2:3]
	v_sub_f32_e32 v29, v29, v0
	v_pk_fma_f32 v[16:17], v[32:33], v[28:29], v[16:17] neg_lo:[0,0,1] neg_hi:[0,0,1]
	v_and_b32_e32 v0, v15, v18
	v_or_b32_e32 v32, v15, v14
	v_bcnt_u32_b32 v26, v0, v26
	v_bitop3_b32 v0, s26, v18, v32 bitop3:0x40
	v_bcnt_u32_b32 v27, v0, v27
	v_cvt_f32_u32_e32 v0, v3
	v_cmp_ne_u32_e64 s[0:1], 0, v1
	v_add3_u32 v28, v1, v26, 1
	v_cmp_ne_u32_e64 s[2:3], 0, v2
	v_cmp_gt_f32_e64 s[4:5], s21, v0
	v_add3_u32 v29, v2, v27, 1
	v_cndmask_b32_e64 v16, 0, v16, s[0:1]
	v_cndmask_b32_e64 v1, 0, 32, s[4:5]
	v_ldexp_f32 v1, v0, v1
	v_log_f32_e32 v1, v1
	v_cmp_ne_u32_e64 s[0:1], 0, v26
	v_cndmask_b32_e64 v17, 0, v17, s[2:3]
	v_cmp_ne_u32_e64 s[2:3], 0, v27
	v_mul_f32_e32 v2, 0x3f317217, v1
	v_fma_f32 v2, v1, s23, -v2
	v_fmac_f32_e32 v2, 0x3377d1cf, v1
	v_fmac_f32_e32 v2, 0x3f317217, v1
	v_cmp_lt_f32_e64 s[6:7], |v1|, s22
	s_nop 1
	v_cndmask_b32_e64 v2, v1, v2, s[6:7]
	v_cvt_f32_u32_e32 v1, v4
	v_cmp_gt_f32_e64 s[6:7], s21, v1
	s_nop 1
	v_cndmask_b32_e64 v33, 0, 32, s[6:7]
	v_ldexp_f32 v33, v1, v33
	v_log_f32_e32 v33, v33
	v_pk_add_f32 v[36:37], v[0:1], 0.5 op_sel_hi:[1,0]
	v_pk_add_f32 v[0:1], v[0:1], -1.0 op_sel_hi:[1,0]
	v_mul_f32_e32 v34, 0x3f317217, v33
	v_fma_f32 v34, v33, s23, -v34
	v_fmac_f32_e32 v34, 0x3377d1cf, v33
	v_fmac_f32_e32 v34, 0x3f317217, v33
	v_cmp_lt_f32_e64 s[8:9], |v33|, s22
	s_nop 1
	v_cndmask_b32_e64 v33, v33, v34, s[8:9]
	v_cndmask_b32_e64 v34, 0, v20, s[4:5]
	v_sub_f32_e32 v34, v2, v34
	v_cndmask_b32_e64 v2, 0, v20, s[6:7]
	v_sub_f32_e32 v35, v33, v2
	v_and_b32_e32 v2, v14, v19
	v_bcnt_u32_b32 v31, v2, v31
	v_and_b32_e32 v2, v15, v19
	v_bcnt_u32_b32 v30, v2, v30
	v_cvt_f32_u32_e32 v2, v5
	v_cmp_ne_u32_e64 s[4:5], 0, v3
	v_add3_u32 v33, v3, v31, 1
	v_pk_fma_f32 v[0:1], v[36:37], v[34:35], v[0:1] neg_lo:[0,0,1] neg_hi:[0,0,1]
	v_cmp_gt_f32_e64 s[8:9], s21, v2
	v_cmp_ne_u32_e64 s[6:7], 0, v4
	v_add3_u32 v34, v4, v30, 1
	v_cndmask_b32_e64 v3, 0, 32, s[8:9]
	v_ldexp_f32 v3, v2, v3
	v_log_f32_e32 v3, v3
	v_bitop3_b32 v15, s26, v15, v46 bitop3:0x40
	v_mul_f32_e32 v4, 0x3f317217, v3
	v_fma_f32 v4, v3, s23, -v4
	v_fmac_f32_e32 v4, 0x3377d1cf, v3
	v_fmac_f32_e32 v4, 0x3f317217, v3
	v_cmp_lt_f32_e64 s[10:11], |v3|, s22
	s_nop 1
	v_cndmask_b32_e64 v4, v3, v4, s[10:11]
	v_cvt_f32_u32_e32 v3, v6
	v_cmp_gt_f32_e64 s[10:11], s21, v3
	s_nop 1
	v_cndmask_b32_e64 v35, 0, 32, s[10:11]
	v_ldexp_f32 v35, v3, v35
	v_log_f32_e32 v35, v35
	v_pk_add_f32 v[38:39], v[2:3], 0.5 op_sel_hi:[1,0]
	v_pk_add_f32 v[2:3], v[2:3], -1.0 op_sel_hi:[1,0]
	v_mul_f32_e32 v36, 0x3f317217, v35
	v_fma_f32 v36, v35, s23, -v36
	v_fmac_f32_e32 v36, 0x3377d1cf, v35
	v_fmac_f32_e32 v36, 0x3f317217, v35
	v_cmp_lt_f32_e64 s[12:13], |v35|, s22
	s_nop 1
	v_cndmask_b32_e64 v35, v35, v36, s[12:13]
	v_cndmask_b32_e64 v36, 0, v20, s[8:9]
	v_sub_f32_e32 v36, v4, v36
	v_cndmask_b32_e64 v4, 0, v20, s[10:11]
	v_sub_f32_e32 v37, v35, v4
	v_bitop3_b32 v4, s26, v19, v32 bitop3:0x40
	v_bcnt_u32_b32 v25, v4, v25
	v_bitop3_b32 v4, s26, v14, v46 bitop3:0x40
	v_bcnt_u32_b32 v14, v4, v24
	v_cvt_f32_u32_e32 v4, v7
	v_cmp_ne_u32_e64 s[8:9], 0, v5
	v_add3_u32 v35, v5, v25, 1
	v_pk_fma_f32 v[2:3], v[38:39], v[36:37], v[2:3] neg_lo:[0,0,1] neg_hi:[0,0,1]
	v_cmp_gt_f32_e64 s[12:13], s21, v4
	v_cmp_ne_u32_e64 s[10:11], 0, v6
	v_add3_u32 v6, v6, v14, 1
	v_cndmask_b32_e64 v5, 0, 32, s[12:13]
	v_ldexp_f32 v5, v4, v5
	v_log_f32_e32 v5, v5
	v_cndmask_b32_e64 v3, 0, v3, s[10:11]
	v_cndmask_b32_e64 v2, 0, v2, s[8:9]
	v_mul_f32_e32 v18, 0x3f317217, v5
	v_fma_f32 v18, v5, s23, -v18
	v_fmac_f32_e32 v18, 0x3377d1cf, v5
	v_fmac_f32_e32 v18, 0x3f317217, v5
	v_cmp_lt_f32_e64 s[14:15], |v5|, s22
	s_nop 1
	v_cndmask_b32_e64 v18, v5, v18, s[14:15]
	v_cvt_f32_u32_e32 v5, v8
	v_cmp_gt_f32_e64 s[14:15], s21, v5
	s_nop 1
	v_cndmask_b32_e64 v19, 0, 32, s[14:15]
	v_ldexp_f32 v19, v5, v19
	v_log_f32_e32 v19, v19
	v_pk_add_f32 v[36:37], v[4:5], 0.5 op_sel_hi:[1,0]
	v_pk_add_f32 v[4:5], v[4:5], -1.0 op_sel_hi:[1,0]
	v_mul_f32_e32 v24, 0x3f317217, v19
	v_fma_f32 v24, v19, s23, -v24
	v_fmac_f32_e32 v24, 0x3377d1cf, v19
	v_fmac_f32_e32 v24, 0x3f317217, v19
	v_cmp_lt_f32_e64 s[16:17], |v19|, s22
	s_nop 1
	v_cndmask_b32_e64 v19, v19, v24, s[16:17]
	v_cndmask_b32_e64 v24, 0, v20, s[12:13]
	v_sub_f32_e32 v18, v18, v24
	v_cndmask_b32_e64 v24, 0, v20, s[14:15]
	v_sub_f32_e32 v19, v19, v24
	v_pk_fma_f32 v[4:5], v[36:37], v[18:19], v[4:5] neg_lo:[0,0,1] neg_hi:[0,0,1]
	v_cvt_f32_u32_e32 v36, v28
	v_bitop3_b32 v18, s26, v32, v46 bitop3:0x10
	v_bcnt_u32_b32 v18, v18, v21
	v_cmp_ne_u32_e64 s[12:13], 0, v8
	v_cmp_gt_f32_e64 s[14:15], s21, v36
	v_add3_u32 v19, v8, v18, 1
	v_cvt_f32_u32_e32 v37, v29
	v_cndmask_b32_e64 v8, 0, 32, s[14:15]
	v_ldexp_f32 v8, v36, v8
	v_log_f32_e32 v8, v8
	v_pk_add_f32 v[40:41], v[36:37], 0.5 op_sel_hi:[1,0]
	v_cndmask_b32_e64 v5, 0, v5, s[12:13]
	v_mul_f32_e32 v21, 0x3f317217, v8
	v_fma_f32 v21, v8, s23, -v21
	v_fmac_f32_e32 v21, 0x3377d1cf, v8
	v_fmac_f32_e32 v21, 0x3f317217, v8
	v_cmp_lt_f32_e64 s[16:17], |v8|, s22
	s_nop 1
	v_cndmask_b32_e64 v8, v8, v21, s[16:17]
	v_cmp_gt_f32_e64 s[16:17], s21, v37
	s_nop 1
	v_cndmask_b32_e64 v21, 0, 32, s[16:17]
	v_ldexp_f32 v21, v37, v21
	v_log_f32_e32 v21, v21
	v_pk_add_f32 v[36:37], v[36:37], -1.0 op_sel_hi:[1,0]
	v_mul_f32_e32 v24, 0x3f317217, v21
	v_fma_f32 v24, v21, s23, -v24
	v_fmac_f32_e32 v24, 0x3377d1cf, v21
	v_fmac_f32_e32 v24, 0x3f317217, v21
	v_cmp_lt_f32_e64 s[18:19], |v21|, s22
	s_nop 1
	v_cndmask_b32_e64 v21, v21, v24, s[18:19]
	v_cndmask_b32_e64 v24, 0, v20, s[14:15]
	v_sub_f32_e32 v38, v8, v24
	v_cndmask_b32_e64 v8, 0, v20, s[16:17]
	v_sub_f32_e32 v39, v21, v8
	v_pk_fma_f32 v[36:37], v[40:41], v[38:39], v[36:37] neg_lo:[0,0,1] neg_hi:[0,0,1]
	v_cvt_f32_u32_e32 v38, v26
	v_cvt_f32_u32_e32 v39, v27
	v_cmp_gt_f32_e64 s[14:15], s21, v38
	s_nop 1
	v_cndmask_b32_e64 v8, 0, 32, s[14:15]
	v_ldexp_f32 v8, v38, v8
	v_log_f32_e32 v8, v8
	v_pk_add_f32 v[42:43], v[38:39], 0.5 op_sel_hi:[1,0]
	v_mul_f32_e32 v21, 0x3f317217, v8
	v_fma_f32 v21, v8, s23, -v21
	v_fmac_f32_e32 v21, 0x3377d1cf, v8
	v_fmac_f32_e32 v21, 0x3f317217, v8
	v_cmp_lt_f32_e64 s[16:17], |v8|, s22
	s_nop 1
	v_cndmask_b32_e64 v8, v8, v21, s[16:17]
	v_cmp_gt_f32_e64 s[16:17], s21, v39
	s_nop 1
	v_cndmask_b32_e64 v21, 0, 32, s[16:17]
	v_ldexp_f32 v21, v39, v21
	v_log_f32_e32 v21, v21
	v_pk_add_f32 v[38:39], v[38:39], -1.0 op_sel_hi:[1,0]
	v_mul_f32_e32 v24, 0x3f317217, v21
	v_fma_f32 v24, v21, s23, -v24
	v_fmac_f32_e32 v24, 0x3377d1cf, v21
	v_fmac_f32_e32 v24, 0x3f317217, v21
	v_cmp_lt_f32_e64 s[18:19], |v21|, s22
	s_nop 1
	v_cndmask_b32_e64 v21, v21, v24, s[18:19]
	v_cndmask_b32_e64 v24, 0, v20, s[14:15]
	v_sub_f32_e32 v40, v8, v24
	v_cndmask_b32_e64 v8, 0, v20, s[16:17]
	v_sub_f32_e32 v41, v21, v8
	v_pk_fma_f32 v[38:39], v[42:43], v[40:41], v[38:39] neg_lo:[0,0,1] neg_hi:[0,0,1]
	v_cvt_f32_u32_e32 v40, v33
	v_cvt_f32_u32_e32 v41, v34
	v_cndmask_b32_e64 v26, 0, v38, s[0:1]
	v_cmp_ne_u32_e64 s[0:1], 0, v23
	v_cmp_gt_f32_e64 s[14:15], s21, v40
	v_pk_add_f32 v[44:45], v[40:41], 0.5 op_sel_hi:[1,0]
	v_cndmask_b32_e64 v12, 0, v12, s[0:1]
	v_cndmask_b32_e64 v8, 0, 32, s[14:15]
	v_ldexp_f32 v8, v40, v8
	v_log_f32_e32 v8, v8
	v_sub_f32_e32 v12, v12, v13
	v_cndmask_b32_e64 v27, 0, v39, s[2:3]
	v_cvt_f32_u32_e32 v13, v30
	v_mul_f32_e32 v21, 0x3f317217, v8
	v_fma_f32 v21, v8, s23, -v21
	v_fmac_f32_e32 v21, 0x3377d1cf, v8
	v_fmac_f32_e32 v21, 0x3f317217, v8
	v_cmp_lt_f32_e64 s[16:17], |v8|, s22
	v_cndmask_b32_e64 v23, 0, v1, s[6:7]
	v_mov_b32_e32 v1, s25
	v_cndmask_b32_e64 v8, v8, v21, s[16:17]
	v_cmp_gt_f32_e64 s[16:17], s21, v41
	s_nop 1
	v_cndmask_b32_e64 v21, 0, 32, s[16:17]
	v_ldexp_f32 v21, v41, v21
	v_log_f32_e32 v21, v21
	v_pk_add_f32 v[40:41], v[40:41], -1.0 op_sel_hi:[1,0]
	v_mul_f32_e32 v24, 0x3f317217, v21
	v_fma_f32 v24, v21, s23, -v24
	v_fmac_f32_e32 v24, 0x3377d1cf, v21
	v_fmac_f32_e32 v24, 0x3f317217, v21
	v_cmp_lt_f32_e64 s[18:19], |v21|, s22
	s_nop 1
	v_cndmask_b32_e64 v21, v21, v24, s[18:19]
	v_cndmask_b32_e64 v24, 0, v20, s[14:15]
	v_sub_f32_e32 v42, v8, v24
	v_cndmask_b32_e64 v8, 0, v20, s[16:17]
	v_sub_f32_e32 v43, v21, v8
	v_cvt_f32_u32_e32 v8, v22
	v_pk_fma_f32 v[40:41], v[44:45], v[42:43], v[40:41] neg_lo:[0,0,1] neg_hi:[0,0,1]
	v_cndmask_b32_e64 v22, 0, v0, s[4:5]
	v_mov_b32_e32 v0, s24
	v_cmp_gt_f32_e64 s[14:15], s21, v8
	s_nop 1
	v_cndmask_b32_e64 v21, 0, 32, s[14:15]
	v_ldexp_f32 v21, v8, v21
	v_log_f32_e32 v21, v21
	s_nop 0
	v_mul_f32_e32 v24, 0x3f317217, v21
	v_fma_f32 v24, v21, s23, -v24
	v_fmac_f32_e32 v24, 0x3377d1cf, v21
	v_fmac_f32_e32 v24, 0x3f317217, v21
	v_cmp_lt_f32_e64 s[16:17], |v21|, s22
	s_nop 1
	v_cndmask_b32_e64 v21, v21, v24, s[16:17]
	v_cndmask_b32_e64 v24, 0, v20, s[14:15]
	s_mov_b32 s14, 0.5
	s_mov_b32 s15, -1.0
	v_sub_f32_e32 v21, v21, v24
	v_pk_add_f32 v[42:43], v[8:9], s[14:15] op_sel_hi:[0,1]
	v_fma_f32 v8, v42, v21, -v43
	v_cmp_ne_u32_e64 s[14:15], 0, v28
	v_cmp_ne_u32_e64 s[16:17], 0, v29
	v_cndmask_b32_e32 v8, 0, v8, vcc
	v_cndmask_b32_e64 v28, 0, v36, s[14:15]
	v_cndmask_b32_e64 v29, 0, v37, s[16:17]
	v_pk_add_f32 v[16:17], v[28:29], v[16:17] neg_lo:[0,1] neg_hi:[0,1]
	v_sub_f32_e32 v8, v12, v8
	v_cvt_f32_u32_e32 v12, v31
	v_pk_add_f32 v[16:17], v[16:17], v[26:27] neg_lo:[0,1] neg_hi:[0,1]
	v_add_f32_e32 v8, 0, v8
	v_add_f32_e32 v8, v8, v16
	v_cmp_ne_u32_e32 vcc, 0, v34
	v_add_f32_e32 v21, v8, v17
	v_pk_add_f32 v[26:27], v[12:13], 0.5 op_sel_hi:[1,0]
	v_cndmask_b32_e32 v17, 0, v41, vcc
	v_cmp_ne_u32_e32 vcc, 0, v33
	s_nop 1
	v_cndmask_b32_e32 v16, 0, v40, vcc
	v_cmp_gt_f32_e32 vcc, s21, v12
	v_pk_add_f32 v[16:17], v[16:17], v[22:23] neg_lo:[0,1] neg_hi:[0,1]
	s_nop 0
	v_cndmask_b32_e64 v8, 0, 32, vcc
	v_ldexp_f32 v8, v12, v8
	v_log_f32_e32 v24, v8
	v_mad_u64_u32 v[8:9], s[0:1], v9, s20, v[10:11]
	v_cndmask_b32_e32 v22, 0, v20, vcc
	v_mul_f32_e32 v9, 0x3f317217, v24
	v_fma_f32 v9, v24, s23, -v9
	v_fmac_f32_e32 v9, 0x3377d1cf, v24
	v_fmac_f32_e32 v9, 0x3f317217, v24
	v_cmp_lt_f32_e64 s[0:1], |v24|, s22
	s_nop 1
	v_cndmask_b32_e64 v9, v24, v9, s[0:1]
	v_cmp_gt_f32_e64 s[0:1], s21, v13
	v_sub_f32_e32 v22, v9, v22
	s_nop 0
	v_cndmask_b32_e64 v10, 0, 32, s[0:1]
	v_ldexp_f32 v10, v13, v10
	v_log_f32_e32 v10, v10
	v_pk_add_f32 v[12:13], v[12:13], -1.0 op_sel_hi:[1,0]
	v_mul_f32_e32 v9, 0x3f317217, v10
	v_fma_f32 v9, v10, s23, -v9
	v_fmac_f32_e32 v9, 0x3377d1cf, v10
	v_fmac_f32_e32 v9, 0x3f317217, v10
	v_cmp_lt_f32_e64 vcc, |v10|, s22
	s_nop 1
	v_cndmask_b32_e32 v9, v10, v9, vcc
	v_cndmask_b32_e64 v10, 0, v20, s[0:1]
	v_sub_f32_e32 v23, v9, v10
	v_pk_fma_f32 v[12:13], v[26:27], v[22:23], v[12:13] neg_lo:[0,0,1] neg_hi:[0,0,1]
	v_cvt_f32_u32_e32 v22, v35
	v_cmp_ne_u32_e32 vcc, 0, v30
	v_cvt_f32_u32_e32 v23, v6
	v_pk_add_f32 v[28:29], v[22:23], 0.5 op_sel_hi:[1,0]
	v_cndmask_b32_e32 v13, 0, v13, vcc
	v_cmp_ne_u32_e32 vcc, 0, v31
	s_nop 1
	v_cndmask_b32_e32 v12, 0, v12, vcc
	v_cmp_gt_f32_e32 vcc, s21, v22
	v_pk_add_f32 v[12:13], v[16:17], v[12:13] neg_lo:[0,1] neg_hi:[0,1]
	s_nop 0
	v_cndmask_b32_e64 v9, 0, 32, vcc
	v_ldexp_f32 v9, v22, v9
	v_log_f32_e32 v9, v9
	v_add_f32_e32 v10, v21, v12
	v_add_f32_e32 v21, v10, v13
	v_cvt_f32_u32_e32 v12, v25
	v_mul_f32_e32 v10, 0x3f317217, v9
	v_fma_f32 v10, v9, s23, -v10
	v_fmac_f32_e32 v10, 0x3377d1cf, v9
	v_fmac_f32_e32 v10, 0x3f317217, v9
	v_cmp_lt_f32_e64 s[0:1], |v9|, s22
	v_cndmask_b32_e32 v13, 0, v20, vcc
	v_cmp_gt_f32_e32 vcc, s21, v23
	v_cndmask_b32_e64 v9, v9, v10, s[0:1]
	v_cmp_gt_f32_e64 s[0:1], s21, v12
	v_cndmask_b32_e64 v17, 0, 32, vcc
	v_sub_f32_e32 v16, v9, v13
	v_cndmask_b32_e64 v10, 0, 32, s[0:1]
	v_ldexp_f32 v10, v12, v10
	v_log_f32_e32 v10, v10
	v_ldexp_f32 v17, v23, v17
	v_log_f32_e32 v17, v17
	v_cvt_f32_u32_e32 v13, v14
	v_mul_f32_e32 v9, 0x3f317217, v10
	v_fma_f32 v9, v10, s23, -v9
	v_fmac_f32_e32 v9, 0x3377d1cf, v10
	v_fmac_f32_e32 v9, 0x3f317217, v10
	v_cmp_lt_f32_e64 s[2:3], |v10|, s22
	v_pk_add_f32 v[22:23], v[22:23], -1.0 op_sel_hi:[1,0]
	s_nop 0
	v_cndmask_b32_e64 v9, v10, v9, s[2:3]
	v_cndmask_b32_e64 v10, 0, v20, s[0:1]
	v_sub_f32_e32 v26, v9, v10
	v_mul_f32_e32 v9, 0x3f317217, v17
	v_fma_f32 v9, v17, s23, -v9
	v_fmac_f32_e32 v9, 0x3377d1cf, v17
	v_fmac_f32_e32 v9, 0x3f317217, v17
	v_cmp_lt_f32_e64 s[0:1], |v17|, s22
	v_cndmask_b32_e32 v10, 0, v20, vcc
	v_cmp_ne_u32_e32 vcc, 0, v6
	v_cndmask_b32_e64 v9, v17, v9, s[0:1]
	v_sub_f32_e32 v17, v9, v10
	v_pk_fma_f32 v[16:17], v[28:29], v[16:17], v[22:23] neg_lo:[0,0,1] neg_hi:[0,0,1]
	s_nop 0
	v_cndmask_b32_e32 v17, 0, v17, vcc
	v_cmp_ne_u32_e32 vcc, 0, v35
	s_nop 1
	v_cndmask_b32_e32 v16, 0, v16, vcc
	v_cmp_gt_f32_e32 vcc, s21, v13
	v_pk_add_f32 v[2:3], v[16:17], v[2:3] neg_lo:[0,1] neg_hi:[0,1]
	v_pk_add_f32 v[16:17], v[12:13], 0.5 op_sel_hi:[1,0]
	v_cndmask_b32_e64 v6, 0, 32, vcc
	v_ldexp_f32 v6, v13, v6
	v_log_f32_e32 v6, v6
	v_pk_add_f32 v[12:13], v[12:13], -1.0 op_sel_hi:[1,0]
	v_mul_f32_e32 v9, 0x3f317217, v6
	v_fma_f32 v9, v6, s23, -v9
	v_fmac_f32_e32 v9, 0x3377d1cf, v6
	v_fmac_f32_e32 v9, 0x3f317217, v6
	v_cmp_lt_f32_e64 s[0:1], |v6|, s22
	s_nop 1
	v_cndmask_b32_e64 v6, v6, v9, s[0:1]
	v_cndmask_b32_e32 v9, 0, v20, vcc
	v_sub_f32_e32 v27, v6, v9
	v_bcnt_u32_b32 v9, v15, v11
	v_pk_fma_f32 v[12:13], v[16:17], v[26:27], v[12:13] neg_lo:[0,0,1] neg_hi:[0,0,1]
	v_add3_u32 v16, v7, v9, 1
	v_cvt_f32_u32_e32 v10, v16
	v_cmp_ne_u32_e32 vcc, 0, v14
	v_cvt_f32_u32_e32 v11, v19
	s_nop 0
	v_cndmask_b32_e32 v13, 0, v13, vcc
	v_cmp_ne_u32_e32 vcc, 0, v25
	s_nop 1
	v_cndmask_b32_e32 v12, 0, v12, vcc
	v_cmp_gt_f32_e32 vcc, s21, v10
	v_pk_add_f32 v[2:3], v[2:3], v[12:13] neg_lo:[0,1] neg_hi:[0,1]
	s_nop 0
	v_cndmask_b32_e64 v6, 0, 32, vcc
	v_ldexp_f32 v6, v10, v6
	v_log_f32_e32 v6, v6
	v_add_f32_e32 v2, v21, v2
	v_add_f32_e32 v17, v2, v3
	v_cndmask_b32_e32 v12, 0, v20, vcc
	v_mul_f32_e32 v2, 0x3f317217, v6
	v_fma_f32 v3, v6, s23, -v2
	v_cvt_f32_u32_e32 v2, v9
	v_fmac_f32_e32 v3, 0x3377d1cf, v6
	v_fmac_f32_e32 v3, 0x3f317217, v6
	v_cmp_lt_f32_e64 s[0:1], |v6|, s22
	s_nop 1
	v_cndmask_b32_e64 v3, v6, v3, s[0:1]
	v_cmp_gt_f32_e64 s[0:1], s21, v2
	v_sub_f32_e32 v12, v3, v12
	v_cvt_f32_u32_e32 v3, v18
	v_cndmask_b32_e64 v6, 0, 32, s[0:1]
	v_ldexp_f32 v6, v2, v6
	v_log_f32_e32 v6, v6
	v_cndmask_b32_e64 v14, 0, v20, s[0:1]
	v_mul_f32_e32 v13, 0x3f317217, v6
	v_fma_f32 v13, v6, s23, -v13
	v_fmac_f32_e32 v13, 0x3377d1cf, v6
	v_fmac_f32_e32 v13, 0x3f317217, v6
	v_cmp_lt_f32_e64 vcc, |v6|, s22
	s_nop 1
	v_cndmask_b32_e32 v6, v6, v13, vcc
	v_cmp_gt_f32_e32 vcc, s21, v11
	v_sub_f32_e32 v6, v6, v14
	v_pk_add_f32 v[14:15], v[10:11], 0.5 op_sel_hi:[1,0]
	v_cndmask_b32_e64 v13, 0, 32, vcc
	v_ldexp_f32 v13, v11, v13
	v_log_f32_e32 v13, v13
	v_pk_add_f32 v[10:11], v[10:11], -1.0 op_sel_hi:[1,0]
	v_mul_f32_e32 v21, 0x3f317217, v13
	v_fma_f32 v21, v13, s23, -v21
	v_fmac_f32_e32 v21, 0x3377d1cf, v13
	v_fmac_f32_e32 v21, 0x3f317217, v13
	v_cmp_lt_f32_e64 s[0:1], |v13|, s22
	s_nop 1
	v_cndmask_b32_e64 v13, v13, v21, s[0:1]
	v_cndmask_b32_e32 v21, 0, v20, vcc
	v_sub_f32_e32 v13, v13, v21
	v_pk_fma_f32 v[10:11], v[14:15], v[12:13], v[10:11] neg_lo:[0,0,1] neg_hi:[0,0,1]
	v_cmp_ne_u32_e32 vcc, 0, v19
	v_cmp_ne_u32_e64 s[0:1], 0, v7
	s_nop 0
	v_cndmask_b32_e32 v11, 0, v11, vcc
	v_cmp_ne_u32_e32 vcc, 0, v16
	v_cndmask_b32_e64 v4, 0, v4, s[0:1]
	s_nop 0
	v_cndmask_b32_e32 v10, 0, v10, vcc
	v_cmp_gt_f32_e32 vcc, s21, v3
	v_pk_add_f32 v[4:5], v[10:11], v[4:5] neg_lo:[0,1] neg_hi:[0,1]
	v_pk_add_f32 v[10:11], v[2:3], 0.5 op_sel_hi:[1,0]
	v_cndmask_b32_e64 v12, 0, 32, vcc
	v_ldexp_f32 v12, v3, v12
	v_log_f32_e32 v12, v12
	v_pk_add_f32 v[2:3], v[2:3], -1.0 op_sel_hi:[1,0]
	v_mul_f32_e32 v7, 0x3f317217, v12
	v_fma_f32 v7, v12, s23, -v7
	v_fmac_f32_e32 v7, 0x3377d1cf, v12
	v_fmac_f32_e32 v7, 0x3f317217, v12
	v_cmp_lt_f32_e64 s[0:1], |v12|, s22
	s_nop 1
	v_cndmask_b32_e64 v7, v12, v7, s[0:1]
	v_cndmask_b32_e32 v12, 0, v20, vcc
	v_sub_f32_e32 v7, v7, v12
	v_pk_fma_f32 v[2:3], v[10:11], v[6:7], v[2:3] neg_lo:[0,0,1] neg_hi:[0,0,1]
	v_cmp_ne_u32_e32 vcc, 0, v18
	s_nop 1
	v_cndmask_b32_e32 v3, 0, v3, vcc
	v_cmp_ne_u32_e32 vcc, 0, v9
	v_ashrrev_i32_e32 v9, 31, v8
	v_lshl_add_u64 v[0:1], v[8:9], 2, v[0:1]
	v_cndmask_b32_e32 v2, 0, v2, vcc
	v_pk_add_f32 v[2:3], v[4:5], v[2:3] neg_lo:[0,1] neg_hi:[0,1]
	s_nop 0
	v_add_f32_e32 v2, v17, v2
	v_add_f32_e32 v2, v2, v3
	v_mov_b32_e32 v3, 0x7f7fffff
	v_cmp_neq_f32_e32 vcc, 0, v2
	s_nop 1
	v_cndmask_b32_e64 v2, v3, |v2|, vcc
	global_store_dword v[0:1], v2, off
.LBB0_12:
	s_endpgm
	.section	.rodata,"a",@progbits
	.p2align	6, 0x0
	.amdhsa_kernel _Z3epiPKjS0_Pfiiiii
		.amdhsa_group_segment_fixed_size 0
		.amdhsa_private_segment_fixed_size 0
		.amdhsa_kernarg_size 304
		.amdhsa_user_sgpr_count 2
		.amdhsa_user_sgpr_dispatch_ptr 0
		.amdhsa_user_sgpr_queue_ptr 0
		.amdhsa_user_sgpr_kernarg_segment_ptr 1
		.amdhsa_user_sgpr_dispatch_id 0
		.amdhsa_user_sgpr_kernarg_preload_length 0
		.amdhsa_user_sgpr_kernarg_preload_offset 0
		.amdhsa_user_sgpr_private_segment_size 0
		.amdhsa_uses_dynamic_stack 0
		.amdhsa_enable_private_segment 0
		.amdhsa_system_sgpr_workgroup_id_x 1
		.amdhsa_system_sgpr_workgroup_id_y 1
		.amdhsa_system_sgpr_workgroup_id_z 0
		.amdhsa_system_sgpr_workgroup_info 0
		.amdhsa_system_vgpr_workitem_id 1
		.amdhsa_next_free_vgpr 47
		.amdhsa_next_free_sgpr 27
		.amdhsa_accum_offset 48
		.amdhsa_reserve_vcc 1
		.amdhsa_float_round_mode_32 0
		.amdhsa_float_round_mode_16_64 0
		.amdhsa_float_denorm_mode_32 3
		.amdhsa_float_denorm_mode_16_64 3
		.amdhsa_dx10_clamp 1
		.amdhsa_ieee_mode 1
		.amdhsa_fp16_overflow 0
		.amdhsa_tg_split 0
		.amdhsa_exception_fp_ieee_invalid_op 0
		.amdhsa_exception_fp_denorm_src 0
		.amdhsa_exception_fp_ieee_div_zero 0
		.amdhsa_exception_fp_ieee_overflow 0
		.amdhsa_exception_fp_ieee_underflow 0
		.amdhsa_exception_fp_ieee_inexact 0
		.amdhsa_exception_int_div_zero 0
	.end_amdhsa_kernel
	.text
.Lfunc_end0:
	.size	_Z3epiPKjS0_Pfiiiii, .Lfunc_end0-_Z3epiPKjS0_Pfiiiii
                                        ; -- End function
	.set _Z3epiPKjS0_Pfiiiii.num_vgpr, 47
	.set _Z3epiPKjS0_Pfiiiii.num_agpr, 0
	.set _Z3epiPKjS0_Pfiiiii.numbered_sgpr, 27
	.set _Z3epiPKjS0_Pfiiiii.num_named_barrier, 0
	.set _Z3epiPKjS0_Pfiiiii.private_seg_size, 0
	.set _Z3epiPKjS0_Pfiiiii.uses_vcc, 1
	.set _Z3epiPKjS0_Pfiiiii.uses_flat_scratch, 0
	.set _Z3epiPKjS0_Pfiiiii.has_dyn_sized_stack, 0
	.set _Z3epiPKjS0_Pfiiiii.has_recursion, 0
	.set _Z3epiPKjS0_Pfiiiii.has_indirect_call, 0
	.section	.AMDGPU.csdata,"",@progbits
; Kernel info:
; codeLenInByte = 4720
; TotalNumSgprs: 33
; NumVgprs: 47
; NumAgprs: 0
; TotalNumVgprs: 47
; ScratchSize: 0
; MemoryBound: 0
; FloatMode: 240
; IeeeMode: 1
; LDSByteSize: 0 bytes/workgroup (compile time only)
; SGPRBlocks: 4
; VGPRBlocks: 5
; NumSGPRsForWavesPerEU: 33
; NumVGPRsForWavesPerEU: 47
; AccumOffset: 48
; Occupancy: 8
; WaveLimiterHint : 0
; COMPUTE_PGM_RSRC2:SCRATCH_EN: 0
; COMPUTE_PGM_RSRC2:USER_SGPR: 2
; COMPUTE_PGM_RSRC2:TRAP_HANDLER: 0
; COMPUTE_PGM_RSRC2:TGID_X_EN: 1
; COMPUTE_PGM_RSRC2:TGID_Y_EN: 1
; COMPUTE_PGM_RSRC2:TGID_Z_EN: 0
; COMPUTE_PGM_RSRC2:TIDIG_COMP_CNT: 1
; COMPUTE_PGM_RSRC3_GFX90A:ACCUM_OFFSET: 11
; COMPUTE_PGM_RSRC3_GFX90A:TG_SPLIT: 0
	.text
	.p2alignl 6, 3212836864
	.fill 256, 4, 3212836864
	.section	.AMDGPU.gpr_maximums,"",@progbits
	.set amdgpu.max_num_vgpr, 0
	.set amdgpu.max_num_agpr, 0
	.set amdgpu.max_num_sgpr, 0
	.text
	.type	__hip_cuid_affbe59675432e54,@object ; @__hip_cuid_affbe59675432e54
	.section	.bss,"aw",@nobits
	.globl	__hip_cuid_affbe59675432e54
__hip_cuid_affbe59675432e54:
	.byte	0                               ; 0x0
	.size	__hip_cuid_affbe59675432e54, 1

	.ident	"AMD clang version 22.0.0git (https://github.com/RadeonOpenCompute/llvm-project roc-7.2.4 26084 f58b06dce1f9c15707c5f808fd002e18c2accf7e)"
	.section	".note.GNU-stack","",@progbits
	.addrsig
	.addrsig_sym __hip_cuid_affbe59675432e54
	.amdgpu_metadata
---
amdhsa.kernels:
  - .agpr_count:     0
    .args:
      - .address_space:  global
        .offset:         0
        .size:           8
        .value_kind:     global_buffer
      - .address_space:  global
        .offset:         8
        .size:           8
        .value_kind:     global_buffer
      - .address_space:  global
        .offset:         16
        .size:           8
        .value_kind:     global_buffer
      - .offset:         24
        .size:           4
        .value_kind:     by_value
      - .offset:         28
        .size:           4
        .value_kind:     by_value
      - .offset:         32
        .size:           4
        .value_kind:     by_value
      - .offset:         36
        .size:           4
        .value_kind:     by_value
      - .offset:         40
        .size:           4
        .value_kind:     by_value
      - .offset:         48
        .size:           4
        .value_kind:     hidden_block_count_x
      - .offset:         52
        .size:           4
        .value_kind:     hidden_block_count_y
      - .offset:         56
        .size:           4
        .value_kind:     hidden_block_count_z
      - .offset:         60
        .size:           2
        .value_kind:     hidden_group_size_x
      - .offset:         62
        .size:           2
        .value_kind:     hidden_group_size_y
      - .offset:         64
        .size:           2
        .value_kind:     hidden_group_size_z
      - .offset:         66
        .size:           2
        .value_kind:     hidden_remainder_x
      - .offset:         68
        .size:           2
        .value_kind:     hidden_remainder_y
      - .offset:         70
        .size:           2
        .value_kind:     hidden_remainder_z
      - .offset:         88
        .size:           8
        .value_kind:     hidden_global_offset_x
      - .offset:         96
        .size:           8
        .value_kind:     hidden_global_offset_y
      - .offset:         104
        .size:           8
        .value_kind:     hidden_global_offset_z
      - .offset:         112
        .size:           2
        .value_kind:     hidden_grid_dims
    .group_segment_fixed_size: 0
    .kernarg_segment_align: 8
    .kernarg_segment_size: 304
    .language:       OpenCL C
    .language_version:
      - 2
      - 0
    .max_flat_workgroup_size: 1024
    .name:           _Z3epiPKjS0_Pfiiiii
    .private_segment_fixed_size: 0
    .sgpr_count:     33
    .sgpr_spill_count: 0
    .symbol:         _Z3epiPKjS0_Pfiiiii.kd
    .uniform_work_group_size: 1
    .uses_dynamic_stack: false
    .vgpr_count:     47
    .vgpr_spill_count: 0
    .wavefront_size: 64
amdhsa.target:   amdgcn-amd-amdhsa--gfx950
amdhsa.version:
  - 1
  - 2
...

	.end_amdgpu_metadata
